;; amdgpu-corpus repo=ROCm/rocFFT kind=compiled arch=gfx950 opt=O3
	.text
	.amdgcn_target "amdgcn-amd-amdhsa--gfx950"
	.amdhsa_code_object_version 6
	.protected	fft_rtc_fwd_len588_factors_7_3_4_7_wgs_252_tpt_84_half_op_CI_CI_sbrr_dirReg ; -- Begin function fft_rtc_fwd_len588_factors_7_3_4_7_wgs_252_tpt_84_half_op_CI_CI_sbrr_dirReg
	.globl	fft_rtc_fwd_len588_factors_7_3_4_7_wgs_252_tpt_84_half_op_CI_CI_sbrr_dirReg
	.p2align	8
	.type	fft_rtc_fwd_len588_factors_7_3_4_7_wgs_252_tpt_84_half_op_CI_CI_sbrr_dirReg,@function
fft_rtc_fwd_len588_factors_7_3_4_7_wgs_252_tpt_84_half_op_CI_CI_sbrr_dirReg: ; @fft_rtc_fwd_len588_factors_7_3_4_7_wgs_252_tpt_84_half_op_CI_CI_sbrr_dirReg
; %bb.0:
	s_load_dwordx4 s[12:15], s[0:1], 0x18
	s_load_dwordx4 s[8:11], s[0:1], 0x0
	;; [unrolled: 1-line block ×3, first 2 shown]
	v_mul_u32_u24_e32 v1, 0x30d, v0
	v_lshrrev_b32_e32 v2, 16, v1
	s_waitcnt lgkmcnt(0)
	s_load_dwordx2 s[18:19], s[12:13], 0x0
	s_load_dwordx2 s[16:17], s[14:15], 0x0
	v_mad_u64_u32 v[8:9], s[2:3], s2, 3, v[2:3]
	v_mov_b32_e32 v10, 0
	v_mov_b32_e32 v9, v10
	v_cmp_lt_u64_e64 s[2:3], s[10:11], 2
	v_mov_b64_e32 v[6:7], 0
	s_and_b64 vcc, exec, s[2:3]
	v_mov_b64_e32 v[2:3], v[6:7]
	v_mov_b64_e32 v[4:5], v[8:9]
	s_cbranch_vccnz .LBB0_8
; %bb.1:
	s_load_dwordx2 s[2:3], s[0:1], 0x10
	s_add_u32 s20, s14, 8
	s_addc_u32 s21, s15, 0
	s_add_u32 s22, s12, 8
	s_addc_u32 s23, s13, 0
	s_waitcnt lgkmcnt(0)
	s_add_u32 s24, s2, 8
	v_mov_b64_e32 v[6:7], 0
	s_addc_u32 s25, s3, 0
	s_mov_b64 s[26:27], 1
	v_mov_b64_e32 v[2:3], v[6:7]
	v_mov_b64_e32 v[12:13], v[8:9]
.LBB0_2:                                ; =>This Inner Loop Header: Depth=1
	s_load_dwordx2 s[28:29], s[24:25], 0x0
                                        ; implicit-def: $vgpr4_vgpr5
	s_waitcnt lgkmcnt(0)
	v_or_b32_e32 v11, s29, v13
	v_cmp_ne_u64_e32 vcc, 0, v[10:11]
	s_and_saveexec_b64 s[2:3], vcc
	s_xor_b64 s[30:31], exec, s[2:3]
	s_cbranch_execz .LBB0_4
; %bb.3:                                ;   in Loop: Header=BB0_2 Depth=1
	v_cvt_f32_u32_e32 v1, s28
	v_cvt_f32_u32_e32 v4, s29
	s_sub_u32 s2, 0, s28
	s_subb_u32 s3, 0, s29
	v_fmac_f32_e32 v1, 0x4f800000, v4
	v_rcp_f32_e32 v1, v1
	s_nop 0
	v_mul_f32_e32 v1, 0x5f7ffffc, v1
	v_mul_f32_e32 v4, 0x2f800000, v1
	v_trunc_f32_e32 v4, v4
	v_fmac_f32_e32 v1, 0xcf800000, v4
	v_cvt_u32_f32_e32 v9, v4
	v_cvt_u32_f32_e32 v1, v1
	v_mul_lo_u32 v4, s2, v9
	v_mul_hi_u32 v11, s2, v1
	v_mul_lo_u32 v5, s3, v1
	v_add_u32_e32 v11, v11, v4
	v_mul_lo_u32 v16, s2, v1
	v_add_u32_e32 v11, v11, v5
	v_mul_hi_u32 v4, v1, v16
	v_mul_hi_u32 v15, v1, v11
	v_mul_lo_u32 v14, v1, v11
	v_mov_b32_e32 v5, v10
	v_lshl_add_u64 v[4:5], v[4:5], 0, v[14:15]
	v_mul_hi_u32 v15, v9, v16
	v_mul_lo_u32 v16, v9, v16
	v_add_co_u32_e32 v4, vcc, v4, v16
	v_mul_hi_u32 v14, v9, v11
	s_nop 0
	v_addc_co_u32_e32 v4, vcc, v5, v15, vcc
	v_mov_b32_e32 v5, v10
	s_nop 0
	v_addc_co_u32_e32 v15, vcc, 0, v14, vcc
	v_mul_lo_u32 v14, v9, v11
	v_lshl_add_u64 v[4:5], v[4:5], 0, v[14:15]
	v_add_co_u32_e32 v1, vcc, v1, v4
	v_mul_lo_u32 v14, s2, v1
	s_nop 0
	v_addc_co_u32_e32 v9, vcc, v9, v5, vcc
	v_mul_lo_u32 v4, s2, v9
	v_mul_hi_u32 v5, s2, v1
	v_add_u32_e32 v4, v5, v4
	v_mul_lo_u32 v5, s3, v1
	v_add_u32_e32 v11, v4, v5
	v_mul_hi_u32 v17, v9, v14
	v_mul_lo_u32 v18, v9, v14
	v_mul_hi_u32 v5, v1, v11
	v_mul_lo_u32 v4, v1, v11
	v_mul_hi_u32 v14, v1, v14
	v_mov_b32_e32 v15, v10
	v_lshl_add_u64 v[4:5], v[14:15], 0, v[4:5]
	v_add_co_u32_e32 v4, vcc, v4, v18
	v_mul_hi_u32 v16, v9, v11
	s_nop 0
	v_addc_co_u32_e32 v4, vcc, v5, v17, vcc
	v_mul_lo_u32 v14, v9, v11
	s_nop 0
	v_addc_co_u32_e32 v15, vcc, 0, v16, vcc
	v_mov_b32_e32 v5, v10
	v_lshl_add_u64 v[4:5], v[4:5], 0, v[14:15]
	v_add_co_u32_e32 v1, vcc, v1, v4
	v_mul_hi_u32 v14, v12, v1
	s_nop 0
	v_addc_co_u32_e32 v9, vcc, v9, v5, vcc
	v_mad_u64_u32 v[4:5], s[2:3], v12, v9, 0
	v_mov_b32_e32 v15, v10
	v_lshl_add_u64 v[4:5], v[14:15], 0, v[4:5]
	v_mad_u64_u32 v[16:17], s[2:3], v13, v1, 0
	v_add_co_u32_e32 v1, vcc, v4, v16
	v_mad_u64_u32 v[14:15], s[2:3], v13, v9, 0
	s_nop 0
	v_addc_co_u32_e32 v4, vcc, v5, v17, vcc
	v_mov_b32_e32 v5, v10
	s_nop 0
	v_addc_co_u32_e32 v15, vcc, 0, v15, vcc
	v_lshl_add_u64 v[4:5], v[4:5], 0, v[14:15]
	v_mul_lo_u32 v1, s29, v4
	v_mul_lo_u32 v9, s28, v5
	v_mad_u64_u32 v[14:15], s[2:3], s28, v4, 0
	v_add3_u32 v1, v15, v9, v1
	v_sub_u32_e32 v9, v13, v1
	v_mov_b32_e32 v11, s29
	v_sub_co_u32_e32 v18, vcc, v12, v14
	v_lshl_add_u64 v[16:17], v[4:5], 0, 1
	s_nop 0
	v_subb_co_u32_e64 v9, s[2:3], v9, v11, vcc
	v_subrev_co_u32_e64 v11, s[2:3], s28, v18
	v_subb_co_u32_e32 v1, vcc, v13, v1, vcc
	s_nop 0
	v_subbrev_co_u32_e64 v9, s[2:3], 0, v9, s[2:3]
	v_cmp_le_u32_e64 s[2:3], s29, v9
	v_cmp_le_u32_e32 vcc, s29, v1
	s_nop 0
	v_cndmask_b32_e64 v14, 0, -1, s[2:3]
	v_cmp_le_u32_e64 s[2:3], s28, v11
	s_nop 1
	v_cndmask_b32_e64 v11, 0, -1, s[2:3]
	v_cmp_eq_u32_e64 s[2:3], s29, v9
	s_nop 1
	v_cndmask_b32_e64 v9, v14, v11, s[2:3]
	v_lshl_add_u64 v[14:15], v[4:5], 0, 2
	v_cmp_ne_u32_e64 s[2:3], 0, v9
	v_cndmask_b32_e64 v11, 0, -1, vcc
	v_cmp_le_u32_e32 vcc, s28, v18
	v_cndmask_b32_e64 v9, v17, v15, s[2:3]
	s_nop 0
	v_cndmask_b32_e64 v15, 0, -1, vcc
	v_cmp_eq_u32_e32 vcc, s29, v1
	s_nop 1
	v_cndmask_b32_e32 v1, v11, v15, vcc
	v_cmp_ne_u32_e32 vcc, 0, v1
	v_cndmask_b32_e64 v1, v16, v14, s[2:3]
	s_nop 0
	v_cndmask_b32_e32 v5, v5, v9, vcc
	v_cndmask_b32_e32 v4, v4, v1, vcc
.LBB0_4:                                ;   in Loop: Header=BB0_2 Depth=1
	s_andn2_saveexec_b64 s[2:3], s[30:31]
	s_cbranch_execz .LBB0_6
; %bb.5:                                ;   in Loop: Header=BB0_2 Depth=1
	v_cvt_f32_u32_e32 v1, s28
	s_sub_i32 s30, 0, s28
	v_rcp_iflag_f32_e32 v1, v1
	s_nop 0
	v_mul_f32_e32 v1, 0x4f7ffffe, v1
	v_cvt_u32_f32_e32 v1, v1
	v_mul_lo_u32 v4, s30, v1
	v_mul_hi_u32 v4, v1, v4
	v_add_u32_e32 v1, v1, v4
	v_mul_hi_u32 v1, v12, v1
	v_mul_lo_u32 v4, v1, s28
	v_sub_u32_e32 v4, v12, v4
	v_add_u32_e32 v5, 1, v1
	v_subrev_u32_e32 v9, s28, v4
	v_cmp_le_u32_e32 vcc, s28, v4
	s_nop 1
	v_cndmask_b32_e32 v4, v4, v9, vcc
	v_cndmask_b32_e32 v1, v1, v5, vcc
	v_add_u32_e32 v5, 1, v1
	v_cmp_le_u32_e32 vcc, s28, v4
	s_nop 1
	v_cndmask_b32_e32 v4, v1, v5, vcc
	v_mov_b32_e32 v5, v10
.LBB0_6:                                ;   in Loop: Header=BB0_2 Depth=1
	s_or_b64 exec, exec, s[2:3]
	v_mad_u64_u32 v[14:15], s[2:3], v4, s28, 0
	s_load_dwordx2 s[2:3], s[22:23], 0x0
	s_add_u32 s26, s26, 1
	v_mul_lo_u32 v1, v5, s28
	v_mul_lo_u32 v9, v4, s29
	s_load_dwordx2 s[28:29], s[20:21], 0x0
	s_addc_u32 s27, s27, 0
	v_add3_u32 v1, v15, v9, v1
	v_sub_co_u32_e32 v9, vcc, v12, v14
	s_add_u32 s20, s20, 8
	s_nop 0
	v_subb_co_u32_e32 v1, vcc, v13, v1, vcc
	s_addc_u32 s21, s21, 0
	s_waitcnt lgkmcnt(0)
	v_mul_lo_u32 v11, s2, v1
	v_mul_lo_u32 v12, s3, v9
	v_mad_u64_u32 v[6:7], s[2:3], s2, v9, v[6:7]
	s_add_u32 s22, s22, 8
	v_add3_u32 v7, v12, v7, v11
	s_addc_u32 s23, s23, 0
	v_mov_b64_e32 v[12:13], s[10:11]
	v_mul_lo_u32 v1, s28, v1
	v_mul_lo_u32 v11, s29, v9
	v_mad_u64_u32 v[2:3], s[2:3], s28, v9, v[2:3]
	s_add_u32 s24, s24, 8
	v_cmp_ge_u64_e32 vcc, s[26:27], v[12:13]
	v_add3_u32 v3, v11, v3, v1
	s_addc_u32 s25, s25, 0
	s_cbranch_vccnz .LBB0_8
; %bb.7:                                ;   in Loop: Header=BB0_2 Depth=1
	v_mov_b64_e32 v[12:13], v[4:5]
	s_branch .LBB0_2
.LBB0_8:
	s_load_dwordx2 s[0:1], s[0:1], 0x28
	s_lshl_b64 s[10:11], s[10:11], 3
	s_add_u32 s2, s14, s10
	s_mov_b32 s14, 0xaaaaaaab
	v_mul_hi_u32 v1, v8, s14
	v_lshrrev_b32_e32 v1, 1, v1
	v_lshl_add_u32 v1, v1, 1, v1
	s_addc_u32 s3, s15, s11
	v_sub_u32_e32 v1, v8, v1
	s_waitcnt lgkmcnt(0)
	v_cmp_gt_u64_e32 vcc, s[0:1], v[4:5]
	v_cmp_le_u64_e64 s[0:1], s[0:1], v[4:5]
                                        ; implicit-def: $vgpr8
                                        ; implicit-def: $vgpr13
                                        ; implicit-def: $vgpr16
	s_and_saveexec_b64 s[14:15], s[0:1]
	s_xor_b64 s[0:1], exec, s[14:15]
; %bb.9:
	s_mov_b32 s14, 0x30c30c4
	v_mul_hi_u32 v6, v0, s14
	v_mul_u32_u24_e32 v6, 0x54, v6
	v_sub_u32_e32 v8, v0, v6
	v_add_u32_e32 v13, 0x54, v8
	v_add_u32_e32 v16, 0xa8, v8
                                        ; implicit-def: $vgpr0
                                        ; implicit-def: $vgpr6_vgpr7
; %bb.10:
	s_or_saveexec_b64 s[0:1], s[0:1]
	v_mul_u32_u24_e32 v1, 0x24c, v1
	v_lshlrev_b32_e32 v11, 2, v1
	s_xor_b64 exec, exec, s[0:1]
	s_cbranch_execz .LBB0_12
; %bb.11:
	s_add_u32 s10, s12, s10
	s_addc_u32 s11, s13, s11
	s_load_dwordx2 s[10:11], s[10:11], 0x0
	s_mov_b32 s12, 0x30c30c4
	s_waitcnt lgkmcnt(0)
	v_mul_lo_u32 v1, s11, v4
	v_mul_lo_u32 v8, s10, v5
	v_mad_u64_u32 v[12:13], s[10:11], s10, v4, 0
	v_add3_u32 v13, v13, v8, v1
	v_mul_hi_u32 v1, v0, s12
	v_mul_u32_u24_e32 v1, 0x54, v1
	v_sub_u32_e32 v8, v0, v1
	v_mad_u64_u32 v[0:1], s[10:11], s18, v8, 0
	v_mov_b32_e32 v10, v1
	v_lshl_add_u64 v[12:13], v[12:13], 2, s[4:5]
	v_mad_u64_u32 v[14:15], s[10:11], s19, v8, v[10:11]
	v_lshl_add_u64 v[6:7], v[6:7], 2, v[12:13]
	v_add_u32_e32 v13, 0x54, v8
	v_mov_b32_e32 v1, v14
	v_mad_u64_u32 v[14:15], s[4:5], s18, v13, 0
	v_mov_b32_e32 v10, v15
	v_mad_u64_u32 v[16:17], s[4:5], s19, v13, v[10:11]
	v_mov_b32_e32 v15, v16
	v_add_u32_e32 v16, 0xa8, v8
	v_mad_u64_u32 v[18:19], s[4:5], s18, v16, 0
	v_mov_b32_e32 v10, v19
	v_mad_u64_u32 v[20:21], s[4:5], s19, v16, v[10:11]
	v_add_u32_e32 v9, 0xfc, v8
	v_mov_b32_e32 v19, v20
	v_mad_u64_u32 v[20:21], s[4:5], s18, v9, 0
	v_mov_b32_e32 v10, v21
	v_mad_u64_u32 v[22:23], s[4:5], s19, v9, v[10:11]
	v_add_u32_e32 v9, 0x150, v8
	v_mov_b32_e32 v21, v22
	;; [unrolled: 5-line block ×4, first 2 shown]
	v_mad_u64_u32 v[26:27], s[4:5], s18, v9, 0
	v_mov_b32_e32 v10, v27
	v_mad_u64_u32 v[28:29], s[4:5], s19, v9, v[10:11]
	v_lshl_add_u64 v[0:1], v[0:1], 2, v[6:7]
	v_mov_b32_e32 v27, v28
	v_lshl_add_u64 v[14:15], v[14:15], 2, v[6:7]
	v_lshl_add_u64 v[18:19], v[18:19], 2, v[6:7]
	;; [unrolled: 1-line block ×6, first 2 shown]
	global_load_dword v9, v[0:1], off
	global_load_dword v10, v[14:15], off
	;; [unrolled: 1-line block ×7, first 2 shown]
	v_lshlrev_b32_e32 v0, 2, v8
	v_add3_u32 v0, 0, v11, v0
	v_add_u32_e32 v1, 0x400, v0
	s_waitcnt vmcnt(5)
	ds_write2_b32 v0, v9, v10 offset1:84
	s_waitcnt vmcnt(3)
	ds_write2_b32 v0, v12, v17 offset0:168 offset1:252
	s_waitcnt vmcnt(1)
	ds_write2_b32 v1, v26, v27 offset0:80 offset1:164
	s_waitcnt vmcnt(0)
	ds_write_b32 v0, v28 offset:2016
.LBB0_12:
	s_or_b64 exec, exec, s[0:1]
	v_lshlrev_b32_e32 v0, 2, v8
	v_add3_u32 v10, 0, v0, v11
	v_add_u32_e32 v9, 0, v11
	v_add_u32_e32 v17, 0x400, v10
	s_load_dwordx2 s[2:3], s[2:3], 0x0
	s_waitcnt lgkmcnt(0)
	s_barrier
	v_add_u32_e32 v12, v9, v0
	ds_read2_b32 v[0:1], v10 offset0:84 offset1:168
	ds_read2_b32 v[6:7], v17 offset0:164 offset1:248
	v_add_u32_e32 v19, 0x200, v10
	ds_read2_b32 v[14:15], v19 offset0:124 offset1:208
	ds_read_b32 v18, v12
	s_movk_i32 s0, 0x3a52
	s_waitcnt lgkmcnt(2)
	v_pk_add_f16 v21, v0, v7
	v_pk_add_f16 v22, v1, v6
	s_waitcnt lgkmcnt(1)
	v_pk_add_f16 v23, v14, v15
	v_pk_add_f16 v24, v22, v21
	v_pk_add_f16 v0, v0, v7 neg_lo:[0,1] neg_hi:[0,1]
	v_pk_add_f16 v1, v1, v6 neg_lo:[0,1] neg_hi:[0,1]
	;; [unrolled: 1-line block ×3, first 2 shown]
	v_pk_add_f16 v24, v23, v24
	v_pk_add_f16 v7, v22, v21 neg_lo:[0,1] neg_hi:[0,1]
	v_pk_add_f16 v14, v21, v23 neg_lo:[0,1] neg_hi:[0,1]
	v_pk_add_f16 v15, v6, v1
	v_pk_add_f16 v21, v1, v0 neg_lo:[0,1] neg_hi:[0,1]
	s_movk_i32 s1, 0x39e0
	s_movk_i32 s5, 0x3b00
	s_waitcnt lgkmcnt(0)
	v_pk_add_f16 v25, v18, v24
	v_pk_add_f16 v18, v0, v6 neg_lo:[0,1] neg_hi:[0,1]
	v_pk_add_f16 v0, v15, v0
	v_pk_mul_f16 v15, v14, s0 op_sel_hi:[1,0]
	v_pk_mul_f16 v26, v7, s1 op_sel_hi:[1,0]
	s_movk_i32 s4, 0x3574
	v_pk_mul_f16 v28, v21, s5 op_sel_hi:[1,0]
	s_mov_b32 s10, 0xbcab
	v_pk_mul_f16 v27, v18, s4 op_sel_hi:[1,0]
	v_pk_fma_f16 v24, v24, s10, v25 op_sel_hi:[1,0,1]
	v_pk_add_f16 v26, v15, v26 op_sel:[1,1] op_sel_hi:[0,0] neg_lo:[1,1] neg_hi:[1,1]
	v_pk_fma_f16 v18, v18, s4, v28 op_sel_hi:[1,0,1] neg_lo:[1,0,1] neg_hi:[1,0,1]
	s_movk_i32 s4, 0x370e
	v_pk_add_f16 v26, v26, v24 op_sel:[0,1] op_sel_hi:[1,0]
	v_pk_fma_f16 v18, v0, s4, v18 op_sel_hi:[1,0,1]
	s_movk_i32 s10, 0x2b26
	v_pk_add_f16 v28, v26, v18
	v_pk_add_f16 v26, v26, v18 neg_lo:[0,1] neg_hi:[0,1]
	v_pk_add_f16 v18, v23, v22 neg_lo:[0,1] neg_hi:[0,1]
	;; [unrolled: 1-line block ×3, first 2 shown]
	v_pk_mul_f16 v18, v18, s10 op_sel_hi:[1,0]
	s_mov_b32 s10, 0xb846
	v_pk_mul_f16 v6, v1, s10 op_sel_hi:[1,0]
	v_alignbit_b32 v22, s0, v18, 16
	v_pk_fma_f16 v1, v1, s10, v27 op_sel_hi:[1,0,1]
	v_pk_fma_f16 v14, v14, s0, v18 op_sel_hi:[1,0,1]
	v_pk_add_f16 v15, v22, v15 op_sel:[0,1] op_sel_hi:[1,0]
	v_pk_fma_f16 v6, v21, s5, v6 op_sel_hi:[1,0,1] neg_lo:[0,0,1] neg_hi:[0,0,1]
	v_pk_fma_f16 v1, v0, s4, v1 op_sel_hi:[1,0,1]
	v_pk_fma_f16 v7, v7, s1, v18 op_sel_hi:[1,0,1] neg_lo:[0,0,1] neg_hi:[0,0,1]
	v_pk_add_f16 v14, v14, v24
	v_pk_add_f16 v15, v15, v24 op_sel:[0,1] op_sel_hi:[1,0]
	v_pk_fma_f16 v0, v0, s4, v6 op_sel_hi:[1,0,1]
	v_alignbit_b32 v6, s0, v1, 16
	v_pk_add_f16 v7, v7, v24
	v_pk_add_f16 v22, v14, v6
	v_pk_add_f16 v23, v15, v1 neg_lo:[0,1] neg_hi:[0,1]
	v_mad_u32_u24 v20, v8, 24, v10
	v_pk_add_f16 v24, v7, v0 op_sel:[0,1] op_sel_hi:[1,0] neg_lo:[0,1] neg_hi:[0,1]
	v_pk_add_f16 v0, v7, v0 op_sel:[0,1] op_sel_hi:[1,0]
	s_mov_b32 s0, 0xffff
	v_pk_add_f16 v21, v1, v15
	v_pack_b32_f16 v1, v22, v23
	s_barrier
	v_alignbit_b32 v29, v26, v28, 16
	v_bfi_b32 v7, s0, v24, v0
	v_pk_add_f16 v18, v14, v6 neg_lo:[0,1] neg_hi:[0,1]
	ds_write2_b32 v20, v25, v1 offset1:1
	ds_write2_b32 v20, v29, v7 offset0:2 offset1:3
	v_bfi_b32 v0, s0, v0, v24
	v_alignbit_b32 v1, v28, v26, 16
	ds_write2_b32 v20, v0, v1 offset0:4 offset1:5
	v_pack_b32_f16 v0, v18, v21
	ds_write_b32 v20, v0 offset:24
	s_waitcnt lgkmcnt(0)
	s_barrier
	ds_read2_b32 v[0:1], v19 offset0:68 offset1:152
	ds_read2_b32 v[6:7], v17 offset0:136 offset1:220
	v_lshl_add_u32 v14, v13, 2, v9
	ds_read_b32 v20, v12
	ds_read_u16 v19, v12 offset:2
	ds_read_b32 v17, v14
	v_cmp_gt_u32_e64 s[0:1], 28, v8
	v_lshlrev_b32_e32 v15, 2, v16
                                        ; implicit-def: $vgpr24
                                        ; implicit-def: $vgpr25
	s_and_saveexec_b64 s[4:5], s[0:1]
	s_cbranch_execz .LBB0_14
; %bb.13:
	v_add3_u32 v18, 0, v15, v11
	v_add_u32_e32 v21, 0x500, v10
	ds_read_b32 v18, v18
	ds_read2_b32 v[22:23], v21 offset0:44 offset1:240
	s_waitcnt lgkmcnt(1)
	v_lshrrev_b32_e32 v21, 16, v18
	s_waitcnt lgkmcnt(0)
	v_alignbit_b32 v25, v22, v22, 16
	v_alignbit_b32 v24, v23, v23, 16
.LBB0_14:
	s_or_b64 exec, exec, s[4:5]
	v_mov_b32_e32 v22, 37
	v_mul_lo_u16_sdwa v23, v8, v22 dst_sel:DWORD dst_unused:UNUSED_PAD src0_sel:BYTE_0 src1_sel:DWORD
	v_sub_u16_sdwa v26, v8, v23 dst_sel:DWORD dst_unused:UNUSED_PAD src0_sel:DWORD src1_sel:BYTE_1
	v_lshrrev_b16_e32 v26, 1, v26
	v_and_b32_e32 v26, 0x7f, v26
	v_add_u16_sdwa v23, v26, v23 dst_sel:DWORD dst_unused:UNUSED_PAD src0_sel:DWORD src1_sel:BYTE_1
	v_mul_lo_u16_sdwa v26, v13, v22 dst_sel:DWORD dst_unused:UNUSED_PAD src0_sel:BYTE_0 src1_sel:DWORD
	v_sub_u16_sdwa v27, v13, v26 dst_sel:DWORD dst_unused:UNUSED_PAD src0_sel:DWORD src1_sel:BYTE_1
	v_lshrrev_b16_e32 v27, 1, v27
	v_and_b32_e32 v27, 0x7f, v27
	v_add_u16_sdwa v26, v27, v26 dst_sel:DWORD dst_unused:UNUSED_PAD src0_sel:DWORD src1_sel:BYTE_1
	v_lshrrev_b16_e32 v32, 2, v23
	v_lshrrev_b16_e32 v34, 2, v26
	v_mul_lo_u16_e32 v23, 7, v32
	v_mul_lo_u16_e32 v26, 7, v34
	v_mul_lo_u16_sdwa v22, v16, v22 dst_sel:DWORD dst_unused:UNUSED_PAD src0_sel:BYTE_0 src1_sel:DWORD
	v_sub_u16_e32 v33, v8, v23
	v_mov_b32_e32 v30, 3
	v_sub_u16_e32 v35, v13, v26
	v_sub_u16_sdwa v26, v16, v22 dst_sel:DWORD dst_unused:UNUSED_PAD src0_sel:DWORD src1_sel:BYTE_1
	v_lshlrev_b32_sdwa v23, v30, v33 dst_sel:DWORD dst_unused:UNUSED_PAD src0_sel:DWORD src1_sel:BYTE_0
	v_lshrrev_b16_e32 v29, 1, v26
	global_load_dwordx2 v[26:27], v23, s[8:9]
	v_and_b32_e32 v23, 0x7f, v29
	v_add_u16_sdwa v22, v23, v22 dst_sel:DWORD dst_unused:UNUSED_PAD src0_sel:DWORD src1_sel:BYTE_1
	v_lshrrev_b16_e32 v22, 2, v22
	v_mul_lo_u16_e32 v23, 7, v22
	v_lshlrev_b32_sdwa v28, v30, v35 dst_sel:DWORD dst_unused:UNUSED_PAD src0_sel:DWORD src1_sel:BYTE_0
	v_sub_u16_e32 v23, v16, v23
	global_load_dwordx2 v[28:29], v28, s[8:9]
	v_lshlrev_b32_sdwa v16, v30, v23 dst_sel:DWORD dst_unused:UNUSED_PAD src0_sel:DWORD src1_sel:BYTE_0
	global_load_dwordx2 v[30:31], v16, s[8:9]
	s_waitcnt lgkmcnt(4)
	v_lshrrev_b32_e32 v36, 16, v0
	s_waitcnt lgkmcnt(3)
	v_lshrrev_b32_e32 v37, 16, v6
	v_lshrrev_b32_e32 v38, 16, v1
	;; [unrolled: 1-line block ×5, first 2 shown]
	s_waitcnt lgkmcnt(0)
	v_lshrrev_b32_e32 v16, 16, v17
	s_movk_i32 s4, 0x3aee
	s_mov_b32 s5, 0xbaee
	s_movk_i32 s10, 0x54
	s_barrier
	s_waitcnt vmcnt(2)
	v_mul_f16_sdwa v42, v26, v36 dst_sel:DWORD dst_unused:UNUSED_PAD src0_sel:WORD_1 src1_sel:DWORD
	v_mul_f16_sdwa v43, v26, v0 dst_sel:DWORD dst_unused:UNUSED_PAD src0_sel:WORD_1 src1_sel:DWORD
	;; [unrolled: 1-line block ×4, first 2 shown]
	v_fma_f16 v0, v26, v0, -v42
	v_fma_f16 v26, v26, v36, v43
	v_fma_f16 v6, v27, v6, -v44
	s_waitcnt vmcnt(1)
	v_mul_f16_sdwa v46, v28, v38 dst_sel:DWORD dst_unused:UNUSED_PAD src0_sel:WORD_1 src1_sel:DWORD
	v_mul_f16_sdwa v47, v28, v1 dst_sel:DWORD dst_unused:UNUSED_PAD src0_sel:WORD_1 src1_sel:DWORD
	;; [unrolled: 1-line block ×4, first 2 shown]
	s_waitcnt vmcnt(0)
	v_mul_f16_sdwa v50, v25, v30 dst_sel:DWORD dst_unused:UNUSED_PAD src0_sel:DWORD src1_sel:WORD_1
	v_mul_f16_sdwa v51, v40, v30 dst_sel:DWORD dst_unused:UNUSED_PAD src0_sel:DWORD src1_sel:WORD_1
	v_mul_f16_sdwa v52, v24, v31 dst_sel:DWORD dst_unused:UNUSED_PAD src0_sel:DWORD src1_sel:WORD_1
	v_mul_f16_sdwa v53, v41, v31 dst_sel:DWORD dst_unused:UNUSED_PAD src0_sel:DWORD src1_sel:WORD_1
	v_fma_f16 v27, v27, v37, v45
	v_fma_f16 v1, v28, v1, -v46
	v_fma_f16 v28, v28, v38, v47
	v_fma_f16 v7, v29, v7, -v48
	;; [unrolled: 2-line block ×4, first 2 shown]
	v_fma_f16 v24, v24, v31, v53
	v_add_f16_e32 v31, v0, v20
	v_add_f16_e32 v37, v0, v6
	v_sub_f16_e32 v38, v26, v27
	v_add_f16_e32 v39, v19, v26
	v_add_f16_e32 v26, v26, v27
	v_sub_f16_e32 v42, v28, v29
	;; [unrolled: 3-line block ×4, first 2 shown]
	v_add_f16_e32 v31, v31, v6
	v_fma_f16 v6, v37, -0.5, v20
	v_fma_f16 v19, v26, -0.5, v19
	;; [unrolled: 1-line block ×3, first 2 shown]
	v_add_f16_e32 v1, v18, v36
	v_add_f16_e32 v27, v39, v27
	v_add_f16_e32 v37, v40, v7
	v_fma_f16 v7, v41, -0.5, v17
	v_fma_f16 v39, v0, s5, v19
	v_fma_f16 v40, v0, s4, v19
	;; [unrolled: 1-line block ×4, first 2 shown]
	v_add_f16_e32 v20, v21, v25
	v_mov_b32_e32 v26, 2
	v_add_f16_e32 v1, v1, v30
	v_fma_f16 v28, v38, s4, v6
	v_fma_f16 v38, v38, s5, v6
	;; [unrolled: 1-line block ×4, first 2 shown]
	v_add_f16_e32 v6, v36, v30
	v_sub_f16_e32 v7, v25, v24
	v_add_f16_e32 v20, v20, v24
	v_add_f16_e32 v24, v25, v24
	v_sub_f16_e32 v25, v36, v30
	v_mad_u32_u24 v30, v32, s10, 0
	v_lshlrev_b32_sdwa v32, v26, v33 dst_sel:DWORD dst_unused:UNUSED_PAD src0_sel:DWORD src1_sel:BYTE_0
	v_add3_u32 v30, v30, v32, v11
	v_pack_b32_f16 v27, v31, v27
	v_pack_b32_f16 v28, v28, v39
	ds_write2_b32 v30, v27, v28 offset1:7
	v_pack_b32_f16 v27, v38, v40
	v_add_f16_e32 v29, v43, v29
	ds_write_b32 v30, v27 offset:56
	v_mad_u32_u24 v27, v34, s10, 0
	v_lshlrev_b32_sdwa v28, v26, v35 dst_sel:DWORD dst_unused:UNUSED_PAD src0_sel:DWORD src1_sel:BYTE_0
	v_fma_f16 v6, v6, -0.5, v18
	v_fma_f16 v24, v24, -0.5, v21
	v_add3_u32 v27, v27, v28, v11
	v_pack_b32_f16 v28, v37, v29
	v_pack_b32_f16 v29, v16, v17
	v_fma_f16 v18, v7, s4, v6
	v_fma_f16 v21, v25, s5, v24
	ds_write2_b32 v27, v28, v29 offset1:7
	v_pack_b32_f16 v28, v0, v19
	ds_write_b32 v27, v28 offset:56
	s_and_saveexec_b64 s[4:5], s[0:1]
	s_cbranch_execz .LBB0_16
; %bb.15:
	v_mul_f16_e32 v7, 0x3aee, v7
	v_mul_f16_e32 v25, 0x3aee, v25
	v_add_f16_e32 v24, v25, v24
	v_sub_f16_e32 v6, v6, v7
	v_mad_u32_u24 v7, v22, s10, 0
	v_lshlrev_b32_sdwa v22, v26, v23 dst_sel:DWORD dst_unused:UNUSED_PAD src0_sel:DWORD src1_sel:BYTE_0
	s_mov_b32 s0, 0x5040100
	v_add3_u32 v7, v7, v22, v11
	v_perm_b32 v22, v20, v1, s0
	v_perm_b32 v23, v21, v18, s0
	v_pack_b32_f16 v6, v6, v24
	ds_write2_b32 v7, v22, v23 offset1:7
	ds_write_b32 v7, v6 offset:56
.LBB0_16:
	s_or_b64 exec, exec, s[4:5]
	v_add_u32_e32 v24, 0x200, v10
	s_waitcnt lgkmcnt(0)
	s_barrier
	ds_read2_b32 v[6:7], v24 offset0:19 offset1:166
	ds_read_b32 v22, v12
	ds_read_b32 v23, v10 offset:1764
	v_cmp_gt_u32_e64 s[0:1], 63, v8
	s_and_saveexec_b64 s[4:5], s[0:1]
	s_cbranch_execz .LBB0_18
; %bb.17:
	ds_read_b32 v16, v14
	ds_read2_b32 v[0:1], v24 offset0:103 offset1:250
	ds_read_b32 v18, v10 offset:2100
	s_waitcnt lgkmcnt(2)
	v_lshrrev_b32_e32 v17, 16, v16
	s_waitcnt lgkmcnt(1)
	v_lshrrev_b32_e32 v19, 16, v0
	v_lshrrev_b32_e32 v20, 16, v1
	s_waitcnt lgkmcnt(0)
	v_lshrrev_b32_e32 v21, 16, v18
.LBB0_18:
	s_or_b64 exec, exec, s[4:5]
	s_movk_i32 s10, 0x87
	v_mul_lo_u16_sdwa v24, v8, s10 dst_sel:DWORD dst_unused:UNUSED_PAD src0_sel:BYTE_0 src1_sel:DWORD
	v_sub_u16_sdwa v25, v8, v24 dst_sel:DWORD dst_unused:UNUSED_PAD src0_sel:DWORD src1_sel:BYTE_1
	v_lshrrev_b16_e32 v25, 1, v25
	v_and_b32_e32 v25, 0x7f, v25
	v_add_u16_sdwa v24, v25, v24 dst_sel:DWORD dst_unused:UNUSED_PAD src0_sel:DWORD src1_sel:BYTE_1
	v_lshrrev_b16_e32 v24, 4, v24
	v_and_b32_e32 v29, 15, v24
	v_mul_lo_u16_e32 v24, 21, v29
	v_sub_u16_e32 v30, v8, v24
	v_mov_b32_e32 v24, 3
	v_mul_u32_u24_sdwa v25, v30, v24 dst_sel:DWORD dst_unused:UNUSED_PAD src0_sel:BYTE_0 src1_sel:DWORD
	v_lshlrev_b32_e32 v25, 2, v25
	global_load_dwordx3 v[26:28], v25, s[8:9] offset:56
	s_movk_i32 s11, 0x150
	v_mov_b32_e32 v25, 2
	v_and_b32_e32 v29, 0xffff, v29
	s_waitcnt lgkmcnt(2)
	v_lshrrev_b32_e32 v32, 16, v6
	v_lshrrev_b32_e32 v33, 16, v7
	s_waitcnt lgkmcnt(0)
	v_lshrrev_b32_e32 v34, 16, v23
	v_mad_u32_u24 v29, v29, s11, 0
	v_lshlrev_b32_sdwa v30, v25, v30 dst_sel:DWORD dst_unused:UNUSED_PAD src0_sel:DWORD src1_sel:BYTE_0
	v_add3_u32 v29, v29, v30, v11
	v_lshrrev_b32_e32 v31, 16, v22
	s_barrier
	s_waitcnt vmcnt(0)
	v_mul_f16_sdwa v30, v26, v32 dst_sel:DWORD dst_unused:UNUSED_PAD src0_sel:WORD_1 src1_sel:DWORD
	v_mul_f16_sdwa v35, v26, v6 dst_sel:DWORD dst_unused:UNUSED_PAD src0_sel:WORD_1 src1_sel:DWORD
	;; [unrolled: 1-line block ×6, first 2 shown]
	v_fma_f16 v6, v26, v6, -v30
	v_fma_f16 v26, v26, v32, v35
	v_fma_f16 v7, v27, v7, -v36
	v_fma_f16 v27, v27, v33, v37
	;; [unrolled: 2-line block ×3, first 2 shown]
	v_sub_f16_e32 v7, v22, v7
	v_sub_f16_e32 v27, v31, v27
	;; [unrolled: 1-line block ×4, first 2 shown]
	v_fma_f16 v22, v22, 2.0, -v7
	v_fma_f16 v30, v31, 2.0, -v27
	;; [unrolled: 1-line block ×4, first 2 shown]
	v_sub_f16_e32 v28, v7, v28
	v_add_f16_e32 v23, v27, v23
	v_sub_f16_e32 v6, v22, v6
	v_sub_f16_e32 v26, v30, v26
	v_fma_f16 v7, v7, 2.0, -v28
	v_fma_f16 v27, v27, 2.0, -v23
	v_pack_b32_f16 v23, v28, v23
	v_fma_f16 v22, v22, 2.0, -v6
	v_fma_f16 v28, v30, 2.0, -v26
	v_pack_b32_f16 v7, v7, v27
	v_pack_b32_f16 v22, v22, v28
	;; [unrolled: 1-line block ×3, first 2 shown]
	ds_write2_b32 v29, v22, v7 offset1:21
	ds_write2_b32 v29, v6, v23 offset0:42 offset1:63
	s_and_saveexec_b64 s[4:5], s[0:1]
	s_cbranch_execz .LBB0_20
; %bb.19:
	v_mul_lo_u16_sdwa v6, v13, s10 dst_sel:DWORD dst_unused:UNUSED_PAD src0_sel:BYTE_0 src1_sel:DWORD
	v_sub_u16_sdwa v7, v13, v6 dst_sel:DWORD dst_unused:UNUSED_PAD src0_sel:DWORD src1_sel:BYTE_1
	v_lshrrev_b16_e32 v7, 1, v7
	v_and_b32_e32 v7, 0x7f, v7
	v_add_u16_sdwa v6, v7, v6 dst_sel:DWORD dst_unused:UNUSED_PAD src0_sel:DWORD src1_sel:BYTE_1
	v_lshrrev_b16_e32 v6, 4, v6
	v_and_b32_e32 v6, 15, v6
	v_mul_lo_u16_e32 v7, 21, v6
	v_sub_u16_e32 v7, v13, v7
	v_mul_u32_u24_sdwa v13, v7, v24 dst_sel:DWORD dst_unused:UNUSED_PAD src0_sel:BYTE_0 src1_sel:DWORD
	v_lshlrev_b32_e32 v13, 2, v13
	global_load_dwordx3 v[22:24], v13, s[8:9] offset:56
	v_and_b32_e32 v6, 0xffff, v6
	v_mad_u32_u24 v6, v6, s11, 0
	v_lshlrev_b32_sdwa v7, v25, v7 dst_sel:DWORD dst_unused:UNUSED_PAD src0_sel:DWORD src1_sel:BYTE_0
	v_add3_u32 v6, v6, v7, v11
	s_waitcnt vmcnt(0)
	v_mul_f16_sdwa v7, v20, v23 dst_sel:DWORD dst_unused:UNUSED_PAD src0_sel:DWORD src1_sel:WORD_1
	v_mul_f16_sdwa v13, v0, v22 dst_sel:DWORD dst_unused:UNUSED_PAD src0_sel:DWORD src1_sel:WORD_1
	;; [unrolled: 1-line block ×6, first 2 shown]
	v_fma_f16 v1, v1, v23, -v7
	v_fma_f16 v7, v19, v22, v13
	v_fma_f16 v13, v21, v24, v25
	;; [unrolled: 1-line block ×3, first 2 shown]
	v_fma_f16 v0, v0, v22, -v27
	v_fma_f16 v18, v18, v24, -v28
	v_sub_f16_e32 v1, v16, v1
	v_sub_f16_e32 v13, v7, v13
	;; [unrolled: 1-line block ×4, first 2 shown]
	v_fma_f16 v16, v16, 2.0, -v1
	v_fma_f16 v0, v0, 2.0, -v18
	v_fma_f16 v17, v17, 2.0, -v19
	v_fma_f16 v7, v7, 2.0, -v13
	v_sub_f16_e32 v20, v1, v13
	v_add_f16_e32 v21, v19, v18
	v_sub_f16_e32 v0, v16, v0
	v_sub_f16_e32 v7, v17, v7
	v_fma_f16 v1, v1, 2.0, -v20
	v_fma_f16 v13, v19, 2.0, -v21
	;; [unrolled: 1-line block ×4, first 2 shown]
	v_pack_b32_f16 v1, v1, v13
	v_pack_b32_f16 v0, v0, v7
	;; [unrolled: 1-line block ×4, first 2 shown]
	ds_write2_b32 v6, v7, v1 offset1:21
	ds_write2_b32 v6, v0, v18 offset0:42 offset1:63
.LBB0_20:
	s_or_b64 exec, exec, s[4:5]
	v_mul_u32_u24_e32 v0, 6, v8
	v_lshlrev_b32_e32 v6, 2, v0
	s_waitcnt lgkmcnt(0)
	s_barrier
	global_load_dwordx4 v[16:19], v6, s[8:9] offset:308
	global_load_dwordx2 v[0:1], v6, s[8:9] offset:324
	v_add3_u32 v6, 0, v15, v11
	v_add_u32_e32 v7, 0x200, v10
	v_add_u32_e32 v11, 0x400, v10
	ds_read_b32 v15, v12
	ds_read_b32 v14, v14
	;; [unrolled: 1-line block ×3, first 2 shown]
	ds_read2_b32 v[6:7], v7 offset0:124 offset1:208
	ds_read2_b32 v[12:13], v11 offset0:164 offset1:248
	s_movk_i32 s0, 0x2b26
	s_waitcnt lgkmcnt(3)
	v_lshrrev_b32_e32 v21, 16, v14
	s_waitcnt lgkmcnt(2)
	v_lshrrev_b32_e32 v22, 16, v20
	s_waitcnt lgkmcnt(1)
	v_lshrrev_b32_e32 v23, 16, v6
	v_lshrrev_b32_e32 v24, 16, v7
	s_waitcnt lgkmcnt(0)
	v_lshrrev_b32_e32 v25, 16, v12
	v_lshrrev_b32_e32 v26, 16, v13
	s_movk_i32 s1, 0x3b00
	s_mov_b32 s4, 0xbcab
	s_barrier
	s_waitcnt vmcnt(1)
	v_mul_f16_sdwa v27, v16, v21 dst_sel:DWORD dst_unused:UNUSED_PAD src0_sel:WORD_1 src1_sel:DWORD
	v_mul_f16_sdwa v28, v16, v14 dst_sel:DWORD dst_unused:UNUSED_PAD src0_sel:WORD_1 src1_sel:DWORD
	;; [unrolled: 1-line block ×8, first 2 shown]
	s_waitcnt vmcnt(0)
	v_mul_f16_sdwa v35, v0, v25 dst_sel:DWORD dst_unused:UNUSED_PAD src0_sel:WORD_1 src1_sel:DWORD
	v_mul_f16_sdwa v36, v0, v12 dst_sel:DWORD dst_unused:UNUSED_PAD src0_sel:WORD_1 src1_sel:DWORD
	v_mul_f16_sdwa v37, v1, v26 dst_sel:DWORD dst_unused:UNUSED_PAD src0_sel:WORD_1 src1_sel:DWORD
	v_mul_f16_sdwa v38, v1, v13 dst_sel:DWORD dst_unused:UNUSED_PAD src0_sel:WORD_1 src1_sel:DWORD
	v_fma_f16 v14, v16, v14, -v27
	v_fma_f16 v16, v16, v21, v28
	v_fma_f16 v20, v17, v20, -v29
	v_fma_f16 v17, v17, v22, v30
	;; [unrolled: 2-line block ×6, first 2 shown]
	v_add_f16_e32 v21, v14, v13
	v_add_f16_e32 v22, v16, v1
	v_sub_f16_e32 v13, v14, v13
	v_sub_f16_e32 v1, v16, v1
	v_add_f16_e32 v14, v20, v12
	v_add_f16_e32 v16, v17, v0
	v_sub_f16_e32 v12, v20, v12
	v_sub_f16_e32 v0, v17, v0
	;; [unrolled: 4-line block ×4, first 2 shown]
	v_sub_f16_e32 v21, v21, v17
	v_sub_f16_e32 v22, v22, v20
	;; [unrolled: 1-line block ×4, first 2 shown]
	v_add_f16_e32 v17, v17, v18
	v_add_f16_e32 v18, v20, v19
	v_mul_f16_e32 v19, 0x3a52, v21
	v_mul_f16_e32 v20, 0x3a52, v22
	v_mul_f16_e32 v21, 0x2b26, v14
	v_mul_f16_e32 v22, 0x2b26, v16
	v_fma_f16 v14, v14, s0, v19
	v_fma_f16 v16, v16, s0, v20
	s_movk_i32 s0, 0x39e0
	v_add_f16_e32 v25, v6, v12
	v_add_f16_e32 v26, v7, v0
	v_sub_f16_e32 v27, v6, v12
	v_sub_f16_e32 v28, v7, v0
	v_fma_f16 v21, v23, s0, -v21
	v_fma_f16 v22, v24, s0, -v22
	s_mov_b32 s0, 0xb9e0
	v_sub_f16_e32 v6, v13, v6
	v_sub_f16_e32 v7, v1, v7
	;; [unrolled: 1-line block ×4, first 2 shown]
	v_add_f16_e32 v13, v25, v13
	v_add_f16_e32 v1, v26, v1
	v_mul_f16_e32 v25, 0xb846, v27
	v_mul_f16_e32 v26, 0xb846, v28
	v_fma_f16 v19, v23, s0, -v19
	v_fma_f16 v20, v24, s0, -v20
	s_movk_i32 s0, 0x3574
	v_mul_f16_e32 v27, 0x3b00, v12
	v_add_f16_e32 v28, v17, v15
	v_add_f16_sdwa v15, v18, v15 dst_sel:DWORD dst_unused:UNUSED_PAD src0_sel:DWORD src1_sel:WORD_1
	v_mul_f16_e32 v29, 0x3b00, v0
	v_fma_f16 v23, v6, s0, v25
	v_fma_f16 v24, v7, s0, v26
	s_mov_b32 s0, 0xb574
	v_fma_f16 v17, v17, s4, v28
	v_fma_f16 v18, v18, s4, v15
	v_fma_f16 v12, v12, s1, -v25
	v_fma_f16 v0, v0, s1, -v26
	;; [unrolled: 1-line block ×4, first 2 shown]
	s_movk_i32 s0, 0x370e
	v_add_f16_e32 v14, v14, v17
	v_add_f16_e32 v16, v16, v18
	;; [unrolled: 1-line block ×6, first 2 shown]
	v_fma_f16 v19, v13, s0, v23
	v_fma_f16 v20, v1, s0, v24
	;; [unrolled: 1-line block ×6, first 2 shown]
	v_add_f16_e32 v7, v20, v14
	v_sub_f16_e32 v13, v16, v19
	v_add_f16_e32 v23, v1, v17
	v_sub_f16_e32 v24, v18, v6
	v_sub_f16_e32 v25, v21, v0
	v_add_f16_e32 v26, v12, v22
	v_add_f16_e32 v0, v0, v21
	v_sub_f16_e32 v12, v22, v12
	v_sub_f16_e32 v1, v17, v1
	v_add_f16_e32 v6, v6, v18
	v_sub_f16_e32 v14, v14, v20
	v_add_f16_e32 v16, v19, v16
	v_pack_b32_f16 v15, v28, v15
	v_pack_b32_f16 v7, v7, v13
	;; [unrolled: 1-line block ×4, first 2 shown]
	ds_write2_b32 v10, v15, v7 offset1:84
	v_pack_b32_f16 v7, v23, v24
	v_pack_b32_f16 v13, v25, v26
	ds_write2_b32 v11, v0, v1 offset0:80 offset1:164
	v_pack_b32_f16 v0, v14, v16
	ds_write2_b32 v10, v7, v13 offset0:168 offset1:252
	ds_write_b32 v10, v0 offset:2016
	s_waitcnt lgkmcnt(0)
	s_barrier
	s_and_saveexec_b64 s[0:1], vcc
	s_cbranch_execz .LBB0_22
; %bb.21:
	v_mul_lo_u32 v6, s3, v4
	v_mul_lo_u32 v5, s2, v5
	v_mad_u64_u32 v[0:1], s[0:1], s2, v4, 0
	v_lshl_add_u32 v9, v8, 2, v9
	v_add3_u32 v1, v1, v5, v6
	v_mad_u64_u32 v[4:5], s[0:1], s16, v8, 0
	ds_read2_b32 v[10:11], v9 offset1:84
	v_mov_b32_e32 v6, v5
	v_mad_u64_u32 v[6:7], s[0:1], s17, v8, v[6:7]
	v_lshl_add_u64 v[0:1], v[0:1], 2, s[6:7]
	v_mov_b32_e32 v5, v6
	v_lshl_add_u64 v[0:1], v[2:3], 2, v[0:1]
	v_lshl_add_u64 v[2:3], v[4:5], 2, v[0:1]
	v_add_u32_e32 v5, 0x54, v8
	s_waitcnt lgkmcnt(0)
	global_store_dword v[2:3], v10, off
	v_mad_u64_u32 v[2:3], s[0:1], s16, v5, 0
	v_mov_b32_e32 v4, v3
	v_mad_u64_u32 v[4:5], s[0:1], s17, v5, v[4:5]
	v_mov_b32_e32 v3, v4
	v_lshl_add_u64 v[2:3], v[2:3], 2, v[0:1]
	v_add_u32_e32 v5, 0xa8, v8
	global_store_dword v[2:3], v11, off
	v_mad_u64_u32 v[2:3], s[0:1], s16, v5, 0
	ds_read2_b32 v[6:7], v9 offset0:168 offset1:252
	v_mov_b32_e32 v4, v3
	v_mad_u64_u32 v[4:5], s[0:1], s17, v5, v[4:5]
	v_mov_b32_e32 v3, v4
	v_lshl_add_u64 v[2:3], v[2:3], 2, v[0:1]
	v_add_u32_e32 v5, 0xfc, v8
	s_waitcnt lgkmcnt(0)
	global_store_dword v[2:3], v6, off
	v_mad_u64_u32 v[2:3], s[0:1], s16, v5, 0
	v_mov_b32_e32 v4, v3
	v_mad_u64_u32 v[4:5], s[0:1], s17, v5, v[4:5]
	v_mov_b32_e32 v3, v4
	v_lshl_add_u64 v[2:3], v[2:3], 2, v[0:1]
	v_add_u32_e32 v5, 0x150, v8
	global_store_dword v[2:3], v7, off
	v_mad_u64_u32 v[2:3], s[0:1], s16, v5, 0
	v_mov_b32_e32 v4, v3
	v_add_u32_e32 v3, 0x400, v9
	ds_read2_b32 v[6:7], v3 offset0:80 offset1:164
	v_mad_u64_u32 v[4:5], s[0:1], s17, v5, v[4:5]
	v_mov_b32_e32 v3, v4
	v_lshl_add_u64 v[2:3], v[2:3], 2, v[0:1]
	v_add_u32_e32 v5, 0x1a4, v8
	s_waitcnt lgkmcnt(0)
	global_store_dword v[2:3], v6, off
	v_mad_u64_u32 v[2:3], s[0:1], s16, v5, 0
	v_mov_b32_e32 v4, v3
	v_mad_u64_u32 v[4:5], s[0:1], s17, v5, v[4:5]
	v_mov_b32_e32 v3, v4
	v_lshl_add_u64 v[2:3], v[2:3], 2, v[0:1]
	v_add_u32_e32 v5, 0x1f8, v8
	global_store_dword v[2:3], v7, off
	v_mad_u64_u32 v[2:3], s[0:1], s16, v5, 0
	ds_read_b32 v6, v9 offset:2016
	v_mov_b32_e32 v4, v3
	v_mad_u64_u32 v[4:5], s[0:1], s17, v5, v[4:5]
	v_mov_b32_e32 v3, v4
	v_lshl_add_u64 v[0:1], v[2:3], 2, v[0:1]
	s_waitcnt lgkmcnt(0)
	global_store_dword v[0:1], v6, off
.LBB0_22:
	s_endpgm
	.section	.rodata,"a",@progbits
	.p2align	6, 0x0
	.amdhsa_kernel fft_rtc_fwd_len588_factors_7_3_4_7_wgs_252_tpt_84_half_op_CI_CI_sbrr_dirReg
		.amdhsa_group_segment_fixed_size 0
		.amdhsa_private_segment_fixed_size 0
		.amdhsa_kernarg_size 104
		.amdhsa_user_sgpr_count 2
		.amdhsa_user_sgpr_dispatch_ptr 0
		.amdhsa_user_sgpr_queue_ptr 0
		.amdhsa_user_sgpr_kernarg_segment_ptr 1
		.amdhsa_user_sgpr_dispatch_id 0
		.amdhsa_user_sgpr_kernarg_preload_length 0
		.amdhsa_user_sgpr_kernarg_preload_offset 0
		.amdhsa_user_sgpr_private_segment_size 0
		.amdhsa_uses_dynamic_stack 0
		.amdhsa_enable_private_segment 0
		.amdhsa_system_sgpr_workgroup_id_x 1
		.amdhsa_system_sgpr_workgroup_id_y 0
		.amdhsa_system_sgpr_workgroup_id_z 0
		.amdhsa_system_sgpr_workgroup_info 0
		.amdhsa_system_vgpr_workitem_id 0
		.amdhsa_next_free_vgpr 54
		.amdhsa_next_free_sgpr 32
		.amdhsa_accum_offset 56
		.amdhsa_reserve_vcc 1
		.amdhsa_float_round_mode_32 0
		.amdhsa_float_round_mode_16_64 0
		.amdhsa_float_denorm_mode_32 3
		.amdhsa_float_denorm_mode_16_64 3
		.amdhsa_dx10_clamp 1
		.amdhsa_ieee_mode 1
		.amdhsa_fp16_overflow 0
		.amdhsa_tg_split 0
		.amdhsa_exception_fp_ieee_invalid_op 0
		.amdhsa_exception_fp_denorm_src 0
		.amdhsa_exception_fp_ieee_div_zero 0
		.amdhsa_exception_fp_ieee_overflow 0
		.amdhsa_exception_fp_ieee_underflow 0
		.amdhsa_exception_fp_ieee_inexact 0
		.amdhsa_exception_int_div_zero 0
	.end_amdhsa_kernel
	.text
.Lfunc_end0:
	.size	fft_rtc_fwd_len588_factors_7_3_4_7_wgs_252_tpt_84_half_op_CI_CI_sbrr_dirReg, .Lfunc_end0-fft_rtc_fwd_len588_factors_7_3_4_7_wgs_252_tpt_84_half_op_CI_CI_sbrr_dirReg
                                        ; -- End function
	.section	.AMDGPU.csdata,"",@progbits
; Kernel info:
; codeLenInByte = 5732
; NumSgprs: 38
; NumVgprs: 54
; NumAgprs: 0
; TotalNumVgprs: 54
; ScratchSize: 0
; MemoryBound: 0
; FloatMode: 240
; IeeeMode: 1
; LDSByteSize: 0 bytes/workgroup (compile time only)
; SGPRBlocks: 4
; VGPRBlocks: 6
; NumSGPRsForWavesPerEU: 38
; NumVGPRsForWavesPerEU: 54
; AccumOffset: 56
; Occupancy: 8
; WaveLimiterHint : 1
; COMPUTE_PGM_RSRC2:SCRATCH_EN: 0
; COMPUTE_PGM_RSRC2:USER_SGPR: 2
; COMPUTE_PGM_RSRC2:TRAP_HANDLER: 0
; COMPUTE_PGM_RSRC2:TGID_X_EN: 1
; COMPUTE_PGM_RSRC2:TGID_Y_EN: 0
; COMPUTE_PGM_RSRC2:TGID_Z_EN: 0
; COMPUTE_PGM_RSRC2:TIDIG_COMP_CNT: 0
; COMPUTE_PGM_RSRC3_GFX90A:ACCUM_OFFSET: 13
; COMPUTE_PGM_RSRC3_GFX90A:TG_SPLIT: 0
	.text
	.p2alignl 6, 3212836864
	.fill 256, 4, 3212836864
	.type	__hip_cuid_484baff810fa526,@object ; @__hip_cuid_484baff810fa526
	.section	.bss,"aw",@nobits
	.globl	__hip_cuid_484baff810fa526
__hip_cuid_484baff810fa526:
	.byte	0                               ; 0x0
	.size	__hip_cuid_484baff810fa526, 1

	.ident	"AMD clang version 19.0.0git (https://github.com/RadeonOpenCompute/llvm-project roc-6.4.0 25133 c7fe45cf4b819c5991fe208aaa96edf142730f1d)"
	.section	".note.GNU-stack","",@progbits
	.addrsig
	.addrsig_sym __hip_cuid_484baff810fa526
	.amdgpu_metadata
---
amdhsa.kernels:
  - .agpr_count:     0
    .args:
      - .actual_access:  read_only
        .address_space:  global
        .offset:         0
        .size:           8
        .value_kind:     global_buffer
      - .offset:         8
        .size:           8
        .value_kind:     by_value
      - .actual_access:  read_only
        .address_space:  global
        .offset:         16
        .size:           8
        .value_kind:     global_buffer
      - .actual_access:  read_only
        .address_space:  global
        .offset:         24
        .size:           8
        .value_kind:     global_buffer
      - .actual_access:  read_only
        .address_space:  global
        .offset:         32
        .size:           8
        .value_kind:     global_buffer
      - .offset:         40
        .size:           8
        .value_kind:     by_value
      - .actual_access:  read_only
        .address_space:  global
        .offset:         48
        .size:           8
        .value_kind:     global_buffer
      - .actual_access:  read_only
        .address_space:  global
        .offset:         56
        .size:           8
        .value_kind:     global_buffer
      - .offset:         64
        .size:           4
        .value_kind:     by_value
      - .actual_access:  read_only
        .address_space:  global
        .offset:         72
        .size:           8
        .value_kind:     global_buffer
      - .actual_access:  read_only
        .address_space:  global
        .offset:         80
        .size:           8
        .value_kind:     global_buffer
      - .actual_access:  read_only
        .address_space:  global
        .offset:         88
        .size:           8
        .value_kind:     global_buffer
      - .actual_access:  write_only
        .address_space:  global
        .offset:         96
        .size:           8
        .value_kind:     global_buffer
    .group_segment_fixed_size: 0
    .kernarg_segment_align: 8
    .kernarg_segment_size: 104
    .language:       OpenCL C
    .language_version:
      - 2
      - 0
    .max_flat_workgroup_size: 252
    .name:           fft_rtc_fwd_len588_factors_7_3_4_7_wgs_252_tpt_84_half_op_CI_CI_sbrr_dirReg
    .private_segment_fixed_size: 0
    .sgpr_count:     38
    .sgpr_spill_count: 0
    .symbol:         fft_rtc_fwd_len588_factors_7_3_4_7_wgs_252_tpt_84_half_op_CI_CI_sbrr_dirReg.kd
    .uniform_work_group_size: 1
    .uses_dynamic_stack: false
    .vgpr_count:     54
    .vgpr_spill_count: 0
    .wavefront_size: 64
amdhsa.target:   amdgcn-amd-amdhsa--gfx950
amdhsa.version:
  - 1
  - 2
...

	.end_amdgpu_metadata
